;; amdgpu-corpus repo=ROCm/rocFFT kind=compiled arch=gfx1030 opt=O3
	.text
	.amdgcn_target "amdgcn-amd-amdhsa--gfx1030"
	.amdhsa_code_object_version 6
	.protected	fft_rtc_fwd_len1750_factors_2_5_5_7_5_wgs_175_tpt_175_halfLds_half_op_CI_CI_unitstride_sbrr_dirReg ; -- Begin function fft_rtc_fwd_len1750_factors_2_5_5_7_5_wgs_175_tpt_175_halfLds_half_op_CI_CI_unitstride_sbrr_dirReg
	.globl	fft_rtc_fwd_len1750_factors_2_5_5_7_5_wgs_175_tpt_175_halfLds_half_op_CI_CI_unitstride_sbrr_dirReg
	.p2align	8
	.type	fft_rtc_fwd_len1750_factors_2_5_5_7_5_wgs_175_tpt_175_halfLds_half_op_CI_CI_unitstride_sbrr_dirReg,@function
fft_rtc_fwd_len1750_factors_2_5_5_7_5_wgs_175_tpt_175_halfLds_half_op_CI_CI_unitstride_sbrr_dirReg: ; @fft_rtc_fwd_len1750_factors_2_5_5_7_5_wgs_175_tpt_175_halfLds_half_op_CI_CI_unitstride_sbrr_dirReg
; %bb.0:
	s_clause 0x2
	s_load_dwordx4 s[12:15], s[4:5], 0x0
	s_load_dwordx4 s[8:11], s[4:5], 0x58
	;; [unrolled: 1-line block ×3, first 2 shown]
	v_mul_u32_u24_e32 v1, 0x177, v0
	v_mov_b32_e32 v7, 0
	v_mov_b32_e32 v5, 0
	;; [unrolled: 1-line block ×3, first 2 shown]
	v_add_nc_u32_sdwa v9, s6, v1 dst_sel:DWORD dst_unused:UNUSED_PAD src0_sel:DWORD src1_sel:WORD_1
	v_mov_b32_e32 v10, v7
	s_waitcnt lgkmcnt(0)
	v_cmp_lt_u64_e64 s0, s[14:15], 2
	s_and_b32 vcc_lo, exec_lo, s0
	s_cbranch_vccnz .LBB0_8
; %bb.1:
	s_load_dwordx2 s[0:1], s[4:5], 0x10
	v_mov_b32_e32 v5, 0
	v_mov_b32_e32 v6, 0
	s_add_u32 s2, s18, 8
	s_addc_u32 s3, s19, 0
	v_mov_b32_e32 v1, v5
	s_add_u32 s6, s16, 8
	v_mov_b32_e32 v2, v6
	s_addc_u32 s7, s17, 0
	s_mov_b64 s[22:23], 1
	s_waitcnt lgkmcnt(0)
	s_add_u32 s20, s0, 8
	s_addc_u32 s21, s1, 0
.LBB0_2:                                ; =>This Inner Loop Header: Depth=1
	s_load_dwordx2 s[24:25], s[20:21], 0x0
                                        ; implicit-def: $vgpr3_vgpr4
	s_mov_b32 s0, exec_lo
	s_waitcnt lgkmcnt(0)
	v_or_b32_e32 v8, s25, v10
	v_cmpx_ne_u64_e32 0, v[7:8]
	s_xor_b32 s1, exec_lo, s0
	s_cbranch_execz .LBB0_4
; %bb.3:                                ;   in Loop: Header=BB0_2 Depth=1
	v_cvt_f32_u32_e32 v3, s24
	v_cvt_f32_u32_e32 v4, s25
	s_sub_u32 s0, 0, s24
	s_subb_u32 s26, 0, s25
	v_fmac_f32_e32 v3, 0x4f800000, v4
	v_rcp_f32_e32 v3, v3
	v_mul_f32_e32 v3, 0x5f7ffffc, v3
	v_mul_f32_e32 v4, 0x2f800000, v3
	v_trunc_f32_e32 v4, v4
	v_fmac_f32_e32 v3, 0xcf800000, v4
	v_cvt_u32_f32_e32 v4, v4
	v_cvt_u32_f32_e32 v3, v3
	v_mul_lo_u32 v8, s0, v4
	v_mul_hi_u32 v11, s0, v3
	v_mul_lo_u32 v12, s26, v3
	v_add_nc_u32_e32 v8, v11, v8
	v_mul_lo_u32 v11, s0, v3
	v_add_nc_u32_e32 v8, v8, v12
	v_mul_hi_u32 v12, v3, v11
	v_mul_lo_u32 v13, v3, v8
	v_mul_hi_u32 v14, v3, v8
	v_mul_hi_u32 v15, v4, v11
	v_mul_lo_u32 v11, v4, v11
	v_mul_hi_u32 v16, v4, v8
	v_mul_lo_u32 v8, v4, v8
	v_add_co_u32 v12, vcc_lo, v12, v13
	v_add_co_ci_u32_e32 v13, vcc_lo, 0, v14, vcc_lo
	v_add_co_u32 v11, vcc_lo, v12, v11
	v_add_co_ci_u32_e32 v11, vcc_lo, v13, v15, vcc_lo
	v_add_co_ci_u32_e32 v12, vcc_lo, 0, v16, vcc_lo
	v_add_co_u32 v8, vcc_lo, v11, v8
	v_add_co_ci_u32_e32 v11, vcc_lo, 0, v12, vcc_lo
	v_add_co_u32 v3, vcc_lo, v3, v8
	v_add_co_ci_u32_e32 v4, vcc_lo, v4, v11, vcc_lo
	v_mul_hi_u32 v8, s0, v3
	v_mul_lo_u32 v12, s26, v3
	v_mul_lo_u32 v11, s0, v4
	v_add_nc_u32_e32 v8, v8, v11
	v_mul_lo_u32 v11, s0, v3
	v_add_nc_u32_e32 v8, v8, v12
	v_mul_hi_u32 v12, v3, v11
	v_mul_lo_u32 v13, v3, v8
	v_mul_hi_u32 v14, v3, v8
	v_mul_hi_u32 v15, v4, v11
	v_mul_lo_u32 v11, v4, v11
	v_mul_hi_u32 v16, v4, v8
	v_mul_lo_u32 v8, v4, v8
	v_add_co_u32 v12, vcc_lo, v12, v13
	v_add_co_ci_u32_e32 v13, vcc_lo, 0, v14, vcc_lo
	v_add_co_u32 v11, vcc_lo, v12, v11
	v_add_co_ci_u32_e32 v11, vcc_lo, v13, v15, vcc_lo
	v_add_co_ci_u32_e32 v12, vcc_lo, 0, v16, vcc_lo
	v_add_co_u32 v8, vcc_lo, v11, v8
	v_add_co_ci_u32_e32 v11, vcc_lo, 0, v12, vcc_lo
	v_add_co_u32 v8, vcc_lo, v3, v8
	v_add_co_ci_u32_e32 v13, vcc_lo, v4, v11, vcc_lo
	v_mul_hi_u32 v15, v9, v8
	v_mad_u64_u32 v[11:12], null, v10, v8, 0
	v_mad_u64_u32 v[3:4], null, v9, v13, 0
	;; [unrolled: 1-line block ×3, first 2 shown]
	v_add_co_u32 v3, vcc_lo, v15, v3
	v_add_co_ci_u32_e32 v4, vcc_lo, 0, v4, vcc_lo
	v_add_co_u32 v3, vcc_lo, v3, v11
	v_add_co_ci_u32_e32 v3, vcc_lo, v4, v12, vcc_lo
	v_add_co_ci_u32_e32 v4, vcc_lo, 0, v14, vcc_lo
	v_add_co_u32 v8, vcc_lo, v3, v13
	v_add_co_ci_u32_e32 v11, vcc_lo, 0, v4, vcc_lo
	v_mul_lo_u32 v12, s25, v8
	v_mad_u64_u32 v[3:4], null, s24, v8, 0
	v_mul_lo_u32 v13, s24, v11
	v_sub_co_u32 v3, vcc_lo, v9, v3
	v_add3_u32 v4, v4, v13, v12
	v_sub_nc_u32_e32 v12, v10, v4
	v_subrev_co_ci_u32_e64 v12, s0, s25, v12, vcc_lo
	v_add_co_u32 v13, s0, v8, 2
	v_add_co_ci_u32_e64 v14, s0, 0, v11, s0
	v_sub_co_u32 v15, s0, v3, s24
	v_sub_co_ci_u32_e32 v4, vcc_lo, v10, v4, vcc_lo
	v_subrev_co_ci_u32_e64 v12, s0, 0, v12, s0
	v_cmp_le_u32_e32 vcc_lo, s24, v15
	v_cmp_eq_u32_e64 s0, s25, v4
	v_cndmask_b32_e64 v15, 0, -1, vcc_lo
	v_cmp_le_u32_e32 vcc_lo, s25, v12
	v_cndmask_b32_e64 v16, 0, -1, vcc_lo
	v_cmp_le_u32_e32 vcc_lo, s24, v3
	;; [unrolled: 2-line block ×3, first 2 shown]
	v_cndmask_b32_e64 v17, 0, -1, vcc_lo
	v_cmp_eq_u32_e32 vcc_lo, s25, v12
	v_cndmask_b32_e64 v3, v17, v3, s0
	v_cndmask_b32_e32 v12, v16, v15, vcc_lo
	v_add_co_u32 v15, vcc_lo, v8, 1
	v_add_co_ci_u32_e32 v16, vcc_lo, 0, v11, vcc_lo
	v_cmp_ne_u32_e32 vcc_lo, 0, v12
	v_cndmask_b32_e32 v4, v16, v14, vcc_lo
	v_cndmask_b32_e32 v12, v15, v13, vcc_lo
	v_cmp_ne_u32_e32 vcc_lo, 0, v3
	v_cndmask_b32_e32 v4, v11, v4, vcc_lo
	v_cndmask_b32_e32 v3, v8, v12, vcc_lo
.LBB0_4:                                ;   in Loop: Header=BB0_2 Depth=1
	s_andn2_saveexec_b32 s0, s1
	s_cbranch_execz .LBB0_6
; %bb.5:                                ;   in Loop: Header=BB0_2 Depth=1
	v_cvt_f32_u32_e32 v3, s24
	s_sub_i32 s1, 0, s24
	v_rcp_iflag_f32_e32 v3, v3
	v_mul_f32_e32 v3, 0x4f7ffffe, v3
	v_cvt_u32_f32_e32 v3, v3
	v_mul_lo_u32 v4, s1, v3
	v_mul_hi_u32 v4, v3, v4
	v_add_nc_u32_e32 v3, v3, v4
	v_mul_hi_u32 v3, v9, v3
	v_mul_lo_u32 v4, v3, s24
	v_add_nc_u32_e32 v8, 1, v3
	v_sub_nc_u32_e32 v4, v9, v4
	v_subrev_nc_u32_e32 v11, s24, v4
	v_cmp_le_u32_e32 vcc_lo, s24, v4
	v_cndmask_b32_e32 v4, v4, v11, vcc_lo
	v_cndmask_b32_e32 v3, v3, v8, vcc_lo
	v_cmp_le_u32_e32 vcc_lo, s24, v4
	v_add_nc_u32_e32 v8, 1, v3
	v_mov_b32_e32 v4, v7
	v_cndmask_b32_e32 v3, v3, v8, vcc_lo
.LBB0_6:                                ;   in Loop: Header=BB0_2 Depth=1
	s_or_b32 exec_lo, exec_lo, s0
	v_mul_lo_u32 v8, v4, s24
	v_mul_lo_u32 v13, v3, s25
	s_load_dwordx2 s[0:1], s[6:7], 0x0
	v_mad_u64_u32 v[11:12], null, v3, s24, 0
	s_load_dwordx2 s[24:25], s[2:3], 0x0
	s_add_u32 s22, s22, 1
	s_addc_u32 s23, s23, 0
	s_add_u32 s2, s2, 8
	s_addc_u32 s3, s3, 0
	s_add_u32 s6, s6, 8
	v_add3_u32 v8, v12, v13, v8
	v_sub_co_u32 v9, vcc_lo, v9, v11
	s_addc_u32 s7, s7, 0
	s_add_u32 s20, s20, 8
	v_sub_co_ci_u32_e32 v8, vcc_lo, v10, v8, vcc_lo
	s_addc_u32 s21, s21, 0
	s_waitcnt lgkmcnt(0)
	v_mul_lo_u32 v10, s0, v8
	v_mul_lo_u32 v11, s1, v9
	v_mad_u64_u32 v[5:6], null, s0, v9, v[5:6]
	v_mul_lo_u32 v8, s24, v8
	v_mul_lo_u32 v12, s25, v9
	v_mad_u64_u32 v[1:2], null, s24, v9, v[1:2]
	v_cmp_ge_u64_e64 s0, s[22:23], s[14:15]
	v_add3_u32 v6, v11, v6, v10
	v_add3_u32 v2, v12, v2, v8
	s_and_b32 vcc_lo, exec_lo, s0
	s_cbranch_vccnz .LBB0_9
; %bb.7:                                ;   in Loop: Header=BB0_2 Depth=1
	v_mov_b32_e32 v10, v4
	v_mov_b32_e32 v9, v3
	s_branch .LBB0_2
.LBB0_8:
	v_mov_b32_e32 v1, v5
	v_mov_b32_e32 v3, v9
	;; [unrolled: 1-line block ×4, first 2 shown]
.LBB0_9:
	s_load_dwordx2 s[0:1], s[4:5], 0x28
	v_mul_hi_u32 v18, 0x1767dcf, v0
	s_lshl_b64 s[4:5], s[14:15], 3
                                        ; implicit-def: $sgpr6
                                        ; implicit-def: $vgpr7
	s_add_u32 s2, s18, s4
	s_addc_u32 s3, s19, s5
	s_waitcnt lgkmcnt(0)
	v_cmp_gt_u64_e32 vcc_lo, s[0:1], v[3:4]
	v_cmp_le_u64_e64 s0, s[0:1], v[3:4]
	s_and_saveexec_b32 s1, s0
	s_xor_b32 s0, exec_lo, s1
; %bb.10:
	v_mul_u32_u24_e32 v5, 0xaf, v18
	s_mov_b32 s6, 0
                                        ; implicit-def: $vgpr18
	v_sub_nc_u32_e32 v7, v0, v5
                                        ; implicit-def: $vgpr0
                                        ; implicit-def: $vgpr5_vgpr6
; %bb.11:
	s_or_saveexec_b32 s1, s0
	v_mov_b32_e32 v10, s6
	v_mov_b32_e32 v14, s6
	;; [unrolled: 1-line block ×5, first 2 shown]
                                        ; implicit-def: $vgpr23
                                        ; implicit-def: $vgpr19
                                        ; implicit-def: $vgpr22
                                        ; implicit-def: $vgpr21
                                        ; implicit-def: $vgpr20
                                        ; implicit-def: $vgpr17
                                        ; implicit-def: $vgpr15
                                        ; implicit-def: $vgpr11
                                        ; implicit-def: $vgpr16
                                        ; implicit-def: $vgpr13
	s_xor_b32 exec_lo, exec_lo, s1
	s_cbranch_execz .LBB0_13
; %bb.12:
	s_add_u32 s4, s16, s4
	s_addc_u32 s5, s17, s5
	v_lshlrev_b64 v[5:6], 2, v[5:6]
	s_load_dwordx2 s[4:5], s[4:5], 0x0
	s_waitcnt lgkmcnt(0)
	v_mul_lo_u32 v9, s5, v3
	v_mul_lo_u32 v10, s4, v4
	v_mad_u64_u32 v[7:8], null, s4, v3, 0
	v_add3_u32 v8, v8, v10, v9
	v_mul_u32_u24_e32 v10, 0xaf, v18
	v_lshlrev_b64 v[8:9], 2, v[7:8]
	v_sub_nc_u32_e32 v7, v0, v10
	v_add_co_u32 v0, s0, s8, v8
	v_add_co_ci_u32_e64 v8, s0, s9, v9, s0
	v_lshlrev_b32_e32 v9, 2, v7
	v_add_co_u32 v0, s0, v0, v5
	v_add_co_ci_u32_e64 v6, s0, v8, v6, s0
	v_add_co_u32 v5, s0, v0, v9
	v_add_co_ci_u32_e64 v6, s0, 0, v6, s0
	;; [unrolled: 2-line block ×5, first 2 shown]
	s_clause 0x9
	global_load_dword v19, v[15:16], off offset:1452
	global_load_dword v21, v[8:9], off offset:104
	;; [unrolled: 1-line block ×5, first 2 shown]
	global_load_dword v10, v[5:6], off
	global_load_dword v14, v[5:6], off offset:700
	global_load_dword v12, v[5:6], off offset:1400
	global_load_dword v9, v[15:16], off offset:52
	global_load_dword v8, v[15:16], off offset:752
	s_waitcnt vmcnt(9)
	v_lshrrev_b32_e32 v23, 16, v19
	s_waitcnt vmcnt(8)
	v_lshrrev_b32_e32 v22, 16, v21
	;; [unrolled: 2-line block ×5, first 2 shown]
.LBB0_13:
	s_or_b32 exec_lo, exec_lo, s1
	s_waitcnt vmcnt(4)
	v_lshrrev_b32_e32 v0, 16, v10
	s_waitcnt vmcnt(3)
	v_lshrrev_b32_e32 v5, 16, v14
	v_sub_f16_e32 v6, v10, v19
	v_sub_f16_e32 v18, v14, v21
	s_waitcnt vmcnt(2)
	v_sub_f16_e32 v17, v12, v17
	v_sub_f16_e32 v19, v0, v23
	;; [unrolled: 1-line block ×3, first 2 shown]
	v_lshrrev_b32_e32 v21, 16, v12
	s_waitcnt vmcnt(1)
	v_sub_f16_e32 v11, v9, v11
	s_waitcnt vmcnt(0)
	v_lshrrev_b32_e32 v24, 16, v8
	v_fma_f16 v23, v0, 2.0, -v19
	v_fma_f16 v0, v14, 2.0, -v18
	v_fma_f16 v14, v5, 2.0, -v22
	v_lshrrev_b32_e32 v5, 16, v9
	v_fma_f16 v10, v10, 2.0, -v6
	v_fma_f16 v12, v12, 2.0, -v17
	v_sub_f16_e32 v13, v8, v13
	v_sub_f16_e32 v20, v21, v20
	;; [unrolled: 1-line block ×3, first 2 shown]
	v_fma_f16 v9, v9, 2.0, -v11
	v_lshl_add_u32 v26, v7, 2, 0
	v_sub_f16_e32 v16, v24, v16
	v_fma_f16 v8, v8, 2.0, -v13
	v_fma_f16 v25, v5, 2.0, -v15
	v_add_nc_u32_e32 v5, 0xaf, v7
	v_pack_b32_f16 v6, v10, v6
	v_pack_b32_f16 v12, v12, v17
	v_lshlrev_b32_e32 v17, 1, v7
	v_pack_b32_f16 v0, v0, v18
	v_lshl_add_u32 v10, v5, 2, 0
	v_fma_f16 v21, v21, 2.0, -v20
	v_pack_b32_f16 v9, v9, v11
	v_add_nc_u32_e32 v11, 0x500, v26
	v_fma_f16 v24, v24, 2.0, -v16
	s_load_dwordx2 s[2:3], s[2:3], 0x0
	v_pack_b32_f16 v8, v8, v13
	ds_write_b32 v26, v6
	ds_write_b32 v10, v0
	ds_write2_b32 v11, v12, v9 offset0:30 offset1:205
	v_sub_nc_u32_e32 v0, v26, v17
	v_pack_b32_f16 v6, v23, v19
	v_and_b32_e32 v19, 1, v7
	v_pack_b32_f16 v12, v14, v22
	v_pack_b32_f16 v13, v21, v20
	;; [unrolled: 1-line block ×4, first 2 shown]
	ds_write_b32 v26, v8 offset:2800
	s_waitcnt lgkmcnt(0)
	s_barrier
	buffer_gl0_inv
	ds_read_u16 v8, v0
	ds_read_u16 v18, v0 offset:2450
	ds_read_u16 v27, v0 offset:2100
	;; [unrolled: 1-line block ×9, first 2 shown]
	s_waitcnt lgkmcnt(0)
	s_barrier
	buffer_gl0_inv
	ds_write_b32 v26, v6
	ds_write_b32 v10, v12
	ds_write2_b32 v11, v13, v14 offset0:30 offset1:205
	ds_write_b32 v26, v15 offset:2800
	v_lshlrev_b32_e32 v6, 4, v19
	v_and_b32_e32 v20, 1, v5
	s_waitcnt lgkmcnt(0)
	s_barrier
	buffer_gl0_inv
	global_load_dwordx4 v[10:13], v6, s[12:13]
	v_lshlrev_b32_e32 v6, 4, v20
	v_lshrrev_b32_e32 v21, 1, v7
	v_mov_b32_e32 v22, 0xcccd
	v_lshrrev_b32_e32 v23, 1, v5
	v_mov_b32_e32 v25, 4
	global_load_dwordx4 v[14:17], v6, s[12:13]
	v_and_b32_e32 v6, 0xff, v7
	v_mul_u32_u24_e32 v21, 10, v21
	v_mul_u32_u24_sdwa v22, v5, v22 dst_sel:DWORD dst_unused:UNUSED_PAD src0_sel:WORD_0 src1_sel:DWORD
	v_cmp_gt_u32_e64 s0, 0x4b, v7
	v_mul_lo_u16 v24, 0xcd, v6
	v_or_b32_e32 v19, v21, v19
	v_mul_u32_u24_e32 v21, 10, v23
	v_lshrrev_b16 v23, 11, v24
	v_lshrrev_b32_e32 v24, 19, v22
	ds_read_u16 v22, v0 offset:700
	v_or_b32_e32 v20, v21, v20
	ds_read_u16 v21, v0 offset:1400
	ds_read_u16 v34, v0 offset:2100
	;; [unrolled: 1-line block ×6, first 2 shown]
	ds_read_u16 v40, v0
	ds_read_u16 v41, v0 offset:350
	ds_read_u16 v42, v0 offset:3150
	v_mul_lo_u16 v26, v23, 10
	v_mul_lo_u16 v39, v24, 10
	v_lshl_add_u32 v19, v19, 1, 0
	s_waitcnt vmcnt(0) lgkmcnt(0)
	s_barrier
	v_sub_nc_u16 v26, v7, v26
	v_sub_nc_u16 v39, v5, v39
	buffer_gl0_inv
	v_lshl_add_u32 v20, v20, 1, 0
	v_lshlrev_b32_sdwa v43, v25, v26 dst_sel:DWORD dst_unused:UNUSED_PAD src0_sel:DWORD src1_sel:BYTE_0
	v_mul_f16_sdwa v44, v22, v10 dst_sel:DWORD dst_unused:UNUSED_PAD src0_sel:DWORD src1_sel:WORD_1
	v_mul_f16_sdwa v45, v31, v10 dst_sel:DWORD dst_unused:UNUSED_PAD src0_sel:DWORD src1_sel:WORD_1
	;; [unrolled: 1-line block ×16, first 2 shown]
	v_fma_f16 v31, v31, v10, -v44
	v_fmac_f16_e32 v45, v22, v10
	v_fma_f16 v10, v29, v11, -v46
	v_fmac_f16_e32 v47, v21, v11
	;; [unrolled: 2-line block ×8, first 2 shown]
	v_add_f16_e32 v17, v8, v31
	v_add_f16_e32 v18, v10, v11
	;; [unrolled: 1-line block ×3, first 2 shown]
	v_sub_f16_e32 v27, v31, v10
	v_sub_f16_e32 v28, v12, v11
	;; [unrolled: 1-line block ×4, first 2 shown]
	v_add_f16_e32 v33, v40, v45
	v_add_f16_e32 v34, v47, v49
	;; [unrolled: 1-line block ×3, first 2 shown]
	v_sub_f16_e32 v21, v45, v51
	v_sub_f16_e32 v36, v45, v47
	;; [unrolled: 1-line block ×5, first 2 shown]
	v_add_f16_e32 v45, v9, v13
	v_add_f16_e32 v46, v14, v15
	;; [unrolled: 1-line block ×3, first 2 shown]
	v_sub_f16_e32 v35, v10, v11
	v_add_f16_e32 v62, v55, v57
	v_add_f16_e32 v10, v17, v10
	v_fma_f16 v18, -0.5, v18, v8
	v_fmac_f16_e32 v8, -0.5, v29
	v_add_f16_e32 v29, v53, v59
	v_sub_f16_e32 v22, v47, v49
	v_sub_f16_e32 v31, v31, v12
	;; [unrolled: 1-line block ×3, first 2 shown]
	v_add_f16_e32 v61, v41, v53
	v_sub_f16_e32 v17, v53, v55
	v_add_f16_e32 v27, v27, v28
	v_sub_f16_e32 v28, v59, v57
	v_sub_f16_e32 v53, v55, v53
	v_add_f16_e32 v30, v30, v32
	v_sub_f16_e32 v32, v57, v59
	v_add_f16_e32 v33, v33, v47
	v_fma_f16 v34, -0.5, v34, v40
	v_fmac_f16_e32 v40, -0.5, v38
	v_sub_f16_e32 v50, v55, v57
	v_sub_f16_e32 v52, v13, v14
	;; [unrolled: 1-line block ×4, first 2 shown]
	v_add_f16_e32 v36, v36, v37
	v_add_f16_e32 v37, v42, v44
	;; [unrolled: 1-line block ×3, first 2 shown]
	v_fma_f16 v42, -0.5, v46, v9
	v_fmac_f16_e32 v9, -0.5, v56
	v_sub_f16_e32 v54, v16, v15
	v_sub_f16_e32 v13, v13, v16
	v_fma_f16 v46, -0.5, v62, v41
	v_fmac_f16_e32 v41, -0.5, v29
	v_add_f16_e32 v10, v10, v11
	v_fmamk_f16 v11, v21, 0x3b9c, v18
	v_add_f16_e32 v17, v17, v28
	v_add_f16_e32 v28, v53, v32
	v_fmamk_f16 v29, v22, 0xbb9c, v8
	v_add_f16_e32 v32, v33, v49
	v_fmamk_f16 v33, v31, 0xbb9c, v34
	v_fmac_f16_e32 v8, 0x3b9c, v22
	v_fmamk_f16 v47, v35, 0x3b9c, v40
	v_fmac_f16_e32 v18, 0xbb9c, v21
	v_fmac_f16_e32 v40, 0xbb9c, v35
	v_sub_f16_e32 v60, v15, v16
	v_fmac_f16_e32 v34, 0x3b9c, v31
	v_add_f16_e32 v14, v14, v15
	v_fmamk_f16 v15, v48, 0x3b9c, v42
	v_fmac_f16_e32 v42, 0xbb9c, v48
	v_fmamk_f16 v49, v50, 0xbb9c, v9
	v_fmac_f16_e32 v9, 0x3b9c, v50
	v_add_f16_e32 v38, v52, v54
	v_add_f16_e32 v45, v61, v55
	v_fmamk_f16 v52, v13, 0xbb9c, v46
	v_fmac_f16_e32 v46, 0x3b9c, v13
	v_fmamk_f16 v53, v63, 0x3b9c, v41
	v_fmac_f16_e32 v41, 0xbb9c, v63
	v_fmac_f16_e32 v11, 0x38b4, v22
	;; [unrolled: 1-line block ×8, first 2 shown]
	v_add_f16_e32 v44, v58, v60
	v_add_f16_e32 v10, v10, v12
	v_fmac_f16_e32 v34, 0x38b4, v35
	v_fmac_f16_e32 v15, 0x38b4, v50
	;; [unrolled: 1-line block ×5, first 2 shown]
	v_add_f16_e32 v45, v45, v57
	v_add_f16_e32 v12, v32, v51
	v_fmac_f16_e32 v52, 0xb8b4, v63
	v_fmac_f16_e32 v46, 0x38b4, v63
	;; [unrolled: 1-line block ×11, first 2 shown]
	v_add_f16_e32 v14, v14, v16
	v_fmac_f16_e32 v34, 0x34f2, v36
	v_fmac_f16_e32 v15, 0x34f2, v38
	;; [unrolled: 1-line block ×5, first 2 shown]
	ds_write_b16 v19, v10
	ds_write_b16 v19, v11 offset:4
	ds_write_b16 v19, v29 offset:8
	;; [unrolled: 1-line block ×4, first 2 shown]
	ds_write_b16 v20, v14
	ds_write_b16 v20, v15 offset:4
	ds_write_b16 v20, v49 offset:8
	;; [unrolled: 1-line block ×4, first 2 shown]
	v_lshlrev_b32_sdwa v10, v25, v39 dst_sel:DWORD dst_unused:UNUSED_PAD src0_sel:DWORD src1_sel:WORD_0
	v_add_f16_e32 v16, v45, v59
	v_fmac_f16_e32 v52, 0x34f2, v17
	v_fmac_f16_e32 v46, 0x34f2, v17
	;; [unrolled: 1-line block ×4, first 2 shown]
	s_waitcnt lgkmcnt(0)
	s_barrier
	buffer_gl0_inv
	ds_read_u16 v15, v0
	ds_read_u16 v9, v0 offset:2450
	ds_read_u16 v11, v0 offset:2100
	;; [unrolled: 1-line block ×9, first 2 shown]
	s_waitcnt lgkmcnt(0)
	s_barrier
	buffer_gl0_inv
	ds_write_b16 v19, v12
	ds_write_b16 v19, v33 offset:4
	ds_write_b16 v19, v47 offset:8
	;; [unrolled: 1-line block ×4, first 2 shown]
	ds_write_b16 v20, v16
	ds_write_b16 v20, v52 offset:4
	ds_write_b16 v20, v53 offset:8
	;; [unrolled: 1-line block ×4, first 2 shown]
	s_waitcnt lgkmcnt(0)
	s_barrier
	buffer_gl0_inv
	s_clause 0x1
	global_load_dwordx4 v[19:22], v43, s[12:13] offset:32
	global_load_dwordx4 v[42:45], v10, s[12:13] offset:32
	v_mov_b32_e32 v10, 0x64
	v_mov_b32_e32 v12, 1
	ds_read_u16 v16, v0 offset:700
	v_mul_u32_u24_e32 v14, 0x64, v24
	v_mul_u32_u24_sdwa v10, v23, v10 dst_sel:DWORD dst_unused:UNUSED_PAD src0_sel:WORD_0 src1_sel:DWORD
	ds_read_u16 v23, v0 offset:1400
	v_lshlrev_b32_sdwa v18, v12, v26 dst_sel:DWORD dst_unused:UNUSED_PAD src0_sel:DWORD src1_sel:BYTE_0
	v_lshlrev_b32_sdwa v12, v12, v39 dst_sel:DWORD dst_unused:UNUSED_PAD src0_sel:DWORD src1_sel:WORD_0
	ds_read_u16 v24, v0 offset:2100
	ds_read_u16 v25, v0 offset:2800
	;; [unrolled: 1-line block ×5, first 2 shown]
	v_add3_u32 v18, 0, v10, v18
	v_add3_u32 v14, 0, v14, v12
	ds_read_u16 v12, v0 offset:3150
	ds_read_u16 v26, v0
	ds_read_u16 v10, v0 offset:350
	s_waitcnt vmcnt(0) lgkmcnt(0)
	s_barrier
	buffer_gl0_inv
	v_mul_f16_sdwa v39, v23, v20 dst_sel:DWORD dst_unused:UNUSED_PAD src0_sel:DWORD src1_sel:WORD_1
	v_mul_f16_sdwa v40, v24, v21 dst_sel:DWORD dst_unused:UNUSED_PAD src0_sel:DWORD src1_sel:WORD_1
	;; [unrolled: 1-line block ×10, first 2 shown]
	v_fma_f16 v39, v17, v20, -v39
	v_fma_f16 v40, v11, v21, -v40
	v_mul_f16_sdwa v33, v17, v20 dst_sel:DWORD dst_unused:UNUSED_PAD src0_sel:DWORD src1_sel:WORD_1
	v_mul_f16_sdwa v34, v11, v21 dst_sel:DWORD dst_unused:UNUSED_PAD src0_sel:DWORD src1_sel:WORD_1
	v_fma_f16 v38, v36, v19, -v38
	v_fma_f16 v41, v37, v22, -v41
	v_mul_f16_sdwa v29, v32, v42 dst_sel:DWORD dst_unused:UNUSED_PAD src0_sel:DWORD src1_sel:WORD_1
	v_mul_f16_sdwa v30, v13, v43 dst_sel:DWORD dst_unused:UNUSED_PAD src0_sel:DWORD src1_sel:WORD_1
	;; [unrolled: 1-line block ×4, first 2 shown]
	v_fma_f16 v36, v32, v42, -v50
	v_fma_f16 v13, v13, v43, -v51
	;; [unrolled: 1-line block ×4, first 2 shown]
	v_fmac_f16_e32 v27, v16, v19
	v_fmac_f16_e32 v35, v25, v22
	v_add_f16_e32 v11, v39, v40
	v_fmac_f16_e32 v33, v23, v20
	v_fmac_f16_e32 v34, v24, v21
	v_add_f16_e32 v20, v38, v41
	v_fmac_f16_e32 v29, v49, v42
	v_fmac_f16_e32 v30, v47, v43
	;; [unrolled: 1-line block ×4, first 2 shown]
	v_add_f16_e32 v9, v15, v38
	v_add_f16_e32 v24, v13, v32
	v_add_f16_e32 v45, v36, v37
	v_sub_f16_e32 v12, v27, v35
	v_fma_f16 v48, -0.5, v11, v15
	v_sub_f16_e32 v16, v33, v34
	v_sub_f16_e32 v17, v38, v39
	;; [unrolled: 1-line block ×7, first 2 shown]
	v_fmac_f16_e32 v15, -0.5, v20
	v_add_f16_e32 v23, v8, v36
	v_sub_f16_e32 v25, v29, v28
	v_sub_f16_e32 v42, v30, v31
	v_add_f16_e32 v9, v9, v39
	v_fma_f16 v11, -0.5, v24, v8
	v_fmac_f16_e32 v8, -0.5, v45
	v_fmamk_f16 v24, v12, 0x3b9c, v48
	v_add_f16_e32 v17, v17, v19
	v_add_f16_e32 v19, v21, v22
	;; [unrolled: 1-line block ×3, first 2 shown]
	v_fmamk_f16 v43, v16, 0xbb9c, v15
	v_fmac_f16_e32 v15, 0x3b9c, v16
	v_add_f16_e32 v20, v23, v13
	v_fmac_f16_e32 v48, 0xbb9c, v12
	v_sub_f16_e32 v46, v13, v36
	v_sub_f16_e32 v47, v32, v37
	v_add_f16_e32 v23, v9, v40
	v_fmamk_f16 v44, v25, 0x3b9c, v11
	v_fmac_f16_e32 v11, 0xbb9c, v25
	v_fmamk_f16 v9, v42, 0xbb9c, v8
	v_fmac_f16_e32 v8, 0x3b9c, v42
	v_fmac_f16_e32 v24, 0x38b4, v16
	;; [unrolled: 1-line block ×4, first 2 shown]
	v_add_f16_e32 v20, v20, v32
	v_fmac_f16_e32 v48, 0xb8b4, v16
	v_add_f16_e32 v22, v46, v47
	v_add_f16_e32 v23, v23, v41
	v_fmac_f16_e32 v44, 0x38b4, v42
	v_fmac_f16_e32 v11, 0xb8b4, v42
	;; [unrolled: 1-line block ×7, first 2 shown]
	v_add_f16_e32 v12, v20, v37
	v_fmac_f16_e32 v48, 0x34f2, v17
	v_fmac_f16_e32 v44, 0x34f2, v21
	;; [unrolled: 1-line block ×5, first 2 shown]
	ds_write_b16 v18, v23
	ds_write_b16 v18, v24 offset:20
	ds_write_b16 v18, v43 offset:40
	;; [unrolled: 1-line block ×4, first 2 shown]
	ds_write_b16 v14, v12
	ds_write_b16 v14, v44 offset:20
	ds_write_b16 v14, v9 offset:40
	;; [unrolled: 1-line block ×4, first 2 shown]
	s_waitcnt lgkmcnt(0)
	s_barrier
	buffer_gl0_inv
	ds_read_u16 v12, v0
	ds_read_u16 v25, v0 offset:500
	ds_read_u16 v24, v0 offset:1000
	;; [unrolled: 1-line block ×6, first 2 shown]
                                        ; implicit-def: $vgpr16
                                        ; implicit-def: $vgpr15
                                        ; implicit-def: $vgpr17
                                        ; implicit-def: $vgpr19
	s_and_saveexec_b32 s1, s0
	s_cbranch_execz .LBB0_15
; %bb.14:
	ds_read_u16 v9, v0 offset:350
	ds_read_u16 v8, v0 offset:850
	;; [unrolled: 1-line block ×7, first 2 shown]
.LBB0_15:
	s_or_b32 exec_lo, exec_lo, s1
	v_add_f16_e32 v42, v33, v34
	v_add_f16_e32 v43, v26, v27
	v_sub_f16_e32 v38, v38, v41
	v_sub_f16_e32 v39, v39, v40
	;; [unrolled: 1-line block ×3, first 2 shown]
	v_fma_f16 v40, -0.5, v42, v26
	v_sub_f16_e32 v42, v35, v34
	v_add_f16_e32 v44, v27, v35
	v_add_f16_e32 v43, v43, v33
	v_sub_f16_e32 v33, v33, v27
	v_sub_f16_e32 v36, v36, v37
	v_add_f16_e32 v41, v41, v42
	v_fmac_f16_e32 v26, -0.5, v44
	v_add_f16_e32 v42, v43, v34
	v_add_f16_e32 v43, v30, v31
	v_sub_f16_e32 v34, v34, v35
	v_add_f16_e32 v37, v29, v28
	v_fmamk_f16 v44, v39, 0x3b9c, v26
	v_add_f16_e32 v42, v42, v35
	v_fmac_f16_e32 v26, 0xbb9c, v39
	v_add_f16_e32 v35, v10, v29
	v_fma_f16 v27, -0.5, v43, v10
	v_fmac_f16_e32 v44, 0xb8b4, v38
	v_add_f16_e32 v33, v33, v34
	v_fmac_f16_e32 v26, 0x38b4, v38
	v_add_f16_e32 v34, v35, v30
	v_sub_f16_e32 v32, v13, v32
	v_fmac_f16_e32 v10, -0.5, v37
	v_fmamk_f16 v45, v38, 0xbb9c, v40
	v_fmac_f16_e32 v40, 0x3b9c, v38
	v_fmamk_f16 v35, v36, 0xbb9c, v27
	v_fmac_f16_e32 v44, 0x34f2, v33
	v_fmac_f16_e32 v26, 0x34f2, v33
	v_add_f16_e32 v33, v34, v31
	v_sub_f16_e32 v34, v29, v30
	v_sub_f16_e32 v37, v28, v31
	v_fmac_f16_e32 v27, 0x3b9c, v36
	v_fmamk_f16 v13, v32, 0x3b9c, v10
	v_sub_f16_e32 v29, v30, v29
	v_sub_f16_e32 v30, v31, v28
	v_fmac_f16_e32 v10, 0xbb9c, v32
	v_fmac_f16_e32 v45, 0xb8b4, v39
	;; [unrolled: 1-line block ×4, first 2 shown]
	v_add_f16_e32 v31, v34, v37
	v_fmac_f16_e32 v27, 0x38b4, v32
	v_fmac_f16_e32 v13, 0xb8b4, v36
	v_add_f16_e32 v29, v29, v30
	v_fmac_f16_e32 v10, 0x38b4, v36
	v_fmac_f16_e32 v45, 0x34f2, v41
	;; [unrolled: 1-line block ×4, first 2 shown]
	v_add_f16_e32 v28, v33, v28
	v_fmac_f16_e32 v27, 0x34f2, v31
	v_fmac_f16_e32 v13, 0x34f2, v29
	;; [unrolled: 1-line block ×3, first 2 shown]
	s_waitcnt lgkmcnt(0)
	s_barrier
	buffer_gl0_inv
	ds_write_b16 v18, v42
	ds_write_b16 v18, v45 offset:20
	ds_write_b16 v18, v44 offset:40
	ds_write_b16 v18, v26 offset:60
	ds_write_b16 v18, v40 offset:80
	ds_write_b16 v14, v28
	ds_write_b16 v14, v35 offset:20
	ds_write_b16 v14, v13 offset:40
	;; [unrolled: 1-line block ×4, first 2 shown]
	s_waitcnt lgkmcnt(0)
	s_barrier
	buffer_gl0_inv
	ds_read_u16 v14, v0
	ds_read_u16 v38, v0 offset:500
	ds_read_u16 v37, v0 offset:1000
	;; [unrolled: 1-line block ×6, first 2 shown]
                                        ; implicit-def: $vgpr32
                                        ; implicit-def: $vgpr29
                                        ; implicit-def: $vgpr33
                                        ; implicit-def: $vgpr34
	s_and_saveexec_b32 s1, s0
	s_cbranch_execz .LBB0_17
; %bb.16:
	ds_read_u16 v13, v0 offset:350
	ds_read_u16 v10, v0 offset:850
	;; [unrolled: 1-line block ×7, first 2 shown]
.LBB0_17:
	s_or_b32 exec_lo, exec_lo, s1
	v_mul_lo_u16 v6, v6, 41
	v_mov_b32_e32 v39, 0x147b
	v_mov_b32_e32 v26, 6
	;; [unrolled: 1-line block ×4, first 2 shown]
	v_lshrrev_b16 v6, 11, v6
	v_mul_lo_u16 v18, v6, 50
	v_mul_u32_u24_sdwa v6, v6, v42 dst_sel:DWORD dst_unused:UNUSED_PAD src0_sel:WORD_0 src1_sel:DWORD
	v_sub_nc_u16 v28, v7, v18
	v_lshrrev_b16 v18, 1, v5
	v_mul_u32_u24_sdwa v40, v28, v26 dst_sel:DWORD dst_unused:UNUSED_PAD src0_sel:BYTE_0 src1_sel:DWORD
	v_mul_u32_u24_sdwa v18, v18, v39 dst_sel:DWORD dst_unused:UNUSED_PAD src0_sel:WORD_0 src1_sel:DWORD
	v_lshlrev_b32_sdwa v28, v43, v28 dst_sel:DWORD dst_unused:UNUSED_PAD src0_sel:DWORD src1_sel:BYTE_0
	v_lshlrev_b32_e32 v39, 2, v40
	v_lshrrev_b32_e32 v18, 17, v18
	v_add3_u32 v28, 0, v6, v28
	s_clause 0x1
	global_load_dwordx4 v[47:50], v39, s[12:13] offset:192
	global_load_dwordx2 v[55:56], v39, s[12:13] offset:208
	v_mul_lo_u16 v18, v18, 50
	v_sub_nc_u16 v18, v5, v18
	v_mul_u32_u24_sdwa v26, v18, v26 dst_sel:DWORD dst_unused:UNUSED_PAD src0_sel:WORD_0 src1_sel:DWORD
	v_lshlrev_b32_e32 v26, 2, v26
	s_clause 0x1
	global_load_dwordx4 v[51:54], v26, s[12:13] offset:192
	global_load_dwordx2 v[57:58], v26, s[12:13] offset:208
	v_and_b32_e32 v26, 0xff, v5
	s_waitcnt vmcnt(0) lgkmcnt(0)
	s_barrier
	buffer_gl0_inv
	v_mul_f16_sdwa v45, v38, v47 dst_sel:DWORD dst_unused:UNUSED_PAD src0_sel:DWORD src1_sel:WORD_1
	v_mul_f16_sdwa v39, v25, v47 dst_sel:DWORD dst_unused:UNUSED_PAD src0_sel:DWORD src1_sel:WORD_1
	;; [unrolled: 1-line block ×12, first 2 shown]
	v_fma_f16 v45, v25, v47, -v45
	v_fmac_f16_e32 v39, v38, v47
	v_fma_f16 v38, v24, v48, -v59
	v_fmac_f16_e32 v41, v35, v50
	v_fma_f16 v35, v21, v55, -v62
	v_fma_f16 v47, v20, v56, -v63
	v_fmac_f16_e32 v40, v37, v48
	v_fma_f16 v37, v23, v49, -v60
	v_fmac_f16_e32 v6, v36, v49
	v_mul_f16_sdwa v25, v10, v51 dst_sel:DWORD dst_unused:UNUSED_PAD src0_sel:DWORD src1_sel:WORD_1
	v_mul_f16_sdwa v21, v8, v51 dst_sel:DWORD dst_unused:UNUSED_PAD src0_sel:DWORD src1_sel:WORD_1
	v_fma_f16 v36, v22, v50, -v61
	v_fmac_f16_e32 v44, v31, v55
	v_fmac_f16_e32 v46, v30, v56
	v_mul_f16_sdwa v22, v11, v52 dst_sel:DWORD dst_unused:UNUSED_PAD src0_sel:DWORD src1_sel:WORD_1
	v_mul_f16_sdwa v20, v19, v53 dst_sel:DWORD dst_unused:UNUSED_PAD src0_sel:DWORD src1_sel:WORD_1
	;; [unrolled: 1-line block ×7, first 2 shown]
	v_fma_f16 v30, v8, v51, -v25
	v_fmac_f16_e32 v21, v10, v51
	v_add_f16_e32 v8, v45, v47
	v_add_f16_e32 v10, v38, v35
	v_mul_f16_sdwa v48, v27, v52 dst_sel:DWORD dst_unused:UNUSED_PAD src0_sel:DWORD src1_sel:WORD_1
	v_mul_f16_sdwa v49, v34, v53 dst_sel:DWORD dst_unused:UNUSED_PAD src0_sel:DWORD src1_sel:WORD_1
	;; [unrolled: 1-line block ×3, first 2 shown]
	v_fmac_f16_e32 v22, v27, v52
	v_fmac_f16_e32 v20, v34, v53
	v_fma_f16 v27, v16, v54, -v50
	v_fmac_f16_e32 v23, v32, v54
	v_fma_f16 v32, v17, v57, -v55
	;; [unrolled: 2-line block ×3, first 2 shown]
	v_add_f16_e32 v15, v37, v36
	v_sub_f16_e32 v16, v40, v44
	v_sub_f16_e32 v17, v41, v6
	v_add_f16_e32 v34, v10, v8
	v_fma_f16 v25, v11, v52, -v48
	v_sub_f16_e32 v11, v39, v46
	v_fma_f16 v19, v19, v53, -v49
	v_sub_f16_e32 v48, v10, v8
	v_sub_f16_e32 v8, v8, v15
	;; [unrolled: 1-line block ×3, first 2 shown]
	v_add_f16_e32 v49, v17, v16
	v_sub_f16_e32 v50, v17, v16
	v_add_f16_e32 v15, v15, v34
	v_sub_f16_e32 v16, v16, v11
	v_sub_f16_e32 v17, v11, v17
	v_add_f16_e32 v11, v49, v11
	v_mul_f16_e32 v8, 0x3a52, v8
	v_mul_f16_e32 v49, 0xb846, v50
	v_add_f16_e32 v12, v12, v15
	v_mul_f16_e32 v50, 0x3b00, v16
	v_mul_f16_e32 v34, 0x2b26, v10
	v_fmamk_f16 v10, v10, 0x2b26, v8
	v_fmamk_f16 v51, v17, 0x3574, v49
	;; [unrolled: 1-line block ×3, first 2 shown]
	v_fma_f16 v17, v17, 0xb574, -v50
	v_fma_f16 v8, v48, 0xb9e0, -v8
	;; [unrolled: 1-line block ×4, first 2 shown]
	v_fmac_f16_e32 v51, 0x370e, v11
	v_add_f16_e32 v10, v10, v15
	v_fmac_f16_e32 v17, 0x370e, v11
	v_add_f16_e32 v8, v8, v15
	v_fmac_f16_e32 v16, 0x370e, v11
	v_add_f16_e32 v11, v34, v15
	v_fmac_f16_e32 v31, v29, v58
	ds_write_b16 v28, v12
	v_add_f16_e32 v12, v51, v10
	v_add_f16_e32 v15, v17, v8
	v_sub_f16_e32 v29, v11, v16
	v_add_f16_e32 v11, v16, v11
	v_sub_f16_e32 v8, v8, v17
	v_sub_f16_e32 v10, v10, v51
	ds_write_b16 v28, v12 offset:100
	ds_write_b16 v28, v15 offset:200
	;; [unrolled: 1-line block ×6, first 2 shown]
	s_and_saveexec_b32 s1, s0
	s_cbranch_execz .LBB0_19
; %bb.18:
	v_add_f16_e32 v8, v30, v33
	v_add_f16_e32 v10, v25, v32
	;; [unrolled: 1-line block ×3, first 2 shown]
	v_sub_f16_e32 v12, v21, v31
	v_sub_f16_e32 v15, v23, v20
	;; [unrolled: 1-line block ×3, first 2 shown]
	v_add_f16_e32 v16, v10, v8
	v_sub_f16_e32 v29, v8, v11
	v_sub_f16_e32 v34, v11, v10
	;; [unrolled: 1-line block ×4, first 2 shown]
	v_add_f16_e32 v11, v11, v16
	v_sub_f16_e32 v16, v15, v17
	v_add_f16_e32 v15, v15, v17
	v_sub_f16_e32 v17, v17, v12
	v_mul_f16_e32 v10, 0x3a52, v29
	v_add_f16_e32 v9, v9, v11
	v_mul_f16_e32 v16, 0xb846, v16
	v_add_f16_e32 v12, v15, v12
	v_mul_lo_u16 v15, v26, 41
	v_mul_f16_e32 v49, 0x3b00, v17
	v_mul_f16_e32 v29, 0x2b26, v34
	v_fmamk_f16 v34, v34, 0x2b26, v10
	v_fmamk_f16 v11, v11, 0xbcab, v9
	v_lshrrev_b16 v15, 11, v15
	v_fmamk_f16 v50, v48, 0x3574, v16
	v_fma_f16 v10, v8, 0xb9e0, -v10
	v_fma_f16 v48, v48, 0xb574, -v49
	v_fma_f16 v16, v17, 0x3b00, -v16
	v_fma_f16 v8, v8, 0x39e0, -v29
	v_mul_u32_u24_sdwa v15, v15, v42 dst_sel:DWORD dst_unused:UNUSED_PAD src0_sel:WORD_0 src1_sel:DWORD
	v_lshlrev_b32_sdwa v17, v43, v18 dst_sel:DWORD dst_unused:UNUSED_PAD src0_sel:DWORD src1_sel:WORD_0
	v_add_f16_e32 v34, v34, v11
	v_fmac_f16_e32 v50, 0x370e, v12
	v_add_f16_e32 v10, v10, v11
	v_fmac_f16_e32 v48, 0x370e, v12
	v_fmac_f16_e32 v16, 0x370e, v12
	v_add_f16_e32 v8, v8, v11
	v_add3_u32 v12, 0, v15, v17
	v_add_f16_e32 v15, v50, v34
	v_sub_f16_e32 v11, v10, v48
	v_add_f16_e32 v10, v48, v10
	v_sub_f16_e32 v17, v8, v16
	;; [unrolled: 2-line block ×3, first 2 shown]
	ds_write_b16 v12, v9
	ds_write_b16 v12, v15 offset:100
	ds_write_b16 v12, v10 offset:200
	;; [unrolled: 1-line block ×6, first 2 shown]
.LBB0_19:
	s_or_b32 exec_lo, exec_lo, s1
	v_add_f16_e32 v8, v39, v46
	v_add_f16_e32 v9, v40, v44
	;; [unrolled: 1-line block ×3, first 2 shown]
	v_sub_f16_e32 v11, v38, v35
	v_sub_f16_e32 v12, v36, v37
	;; [unrolled: 1-line block ×3, first 2 shown]
	v_add_f16_e32 v15, v9, v8
	v_sub_f16_e32 v16, v9, v8
	v_sub_f16_e32 v8, v8, v6
	;; [unrolled: 1-line block ×3, first 2 shown]
	v_add_f16_e32 v17, v12, v11
	v_add_f16_e32 v6, v6, v15
	v_sub_f16_e32 v15, v12, v11
	v_sub_f16_e32 v12, v10, v12
	;; [unrolled: 1-line block ×3, first 2 shown]
	v_add_f16_e32 v29, v17, v10
	v_add_f16_e32 v34, v14, v6
	v_mul_f16_e32 v8, 0x3a52, v8
	v_mul_f16_e32 v10, 0x2b26, v9
	;; [unrolled: 1-line block ×4, first 2 shown]
	v_fmamk_f16 v6, v6, 0xbcab, v34
	v_fmamk_f16 v9, v9, 0x2b26, v8
	v_fma_f16 v10, v16, 0x39e0, -v10
	v_fma_f16 v8, v16, 0xb9e0, -v8
	v_fmamk_f16 v35, v12, 0x3574, v14
	v_fma_f16 v36, v11, 0x3b00, -v14
	v_fma_f16 v37, v12, 0xb574, -v15
	v_add_f16_e32 v38, v9, v6
	v_add_f16_e32 v39, v10, v6
	;; [unrolled: 1-line block ×3, first 2 shown]
	s_waitcnt lgkmcnt(0)
	s_barrier
	buffer_gl0_inv
	ds_read_u16 v6, v0
	ds_read_u16 v14, v0 offset:2450
	ds_read_u16 v9, v0 offset:2100
	;; [unrolled: 1-line block ×9, first 2 shown]
	v_fmac_f16_e32 v35, 0x370e, v29
	v_fmac_f16_e32 v37, 0x370e, v29
	;; [unrolled: 1-line block ×3, first 2 shown]
	s_waitcnt lgkmcnt(0)
	s_barrier
	v_sub_f16_e32 v29, v38, v35
	v_sub_f16_e32 v41, v40, v37
	v_add_f16_e32 v42, v36, v39
	v_sub_f16_e32 v36, v39, v36
	v_add_f16_e32 v37, v37, v40
	v_add_f16_e32 v35, v35, v38
	buffer_gl0_inv
	ds_write_b16 v28, v34
	ds_write_b16 v28, v29 offset:100
	ds_write_b16 v28, v41 offset:200
	;; [unrolled: 1-line block ×6, first 2 shown]
	s_and_saveexec_b32 s1, s0
	s_cbranch_execz .LBB0_21
; %bb.20:
	v_add_f16_e32 v21, v21, v31
	v_add_f16_e32 v22, v22, v24
	;; [unrolled: 1-line block ×3, first 2 shown]
	v_sub_f16_e32 v23, v25, v32
	v_sub_f16_e32 v19, v27, v19
	;; [unrolled: 1-line block ×3, first 2 shown]
	v_add_f16_e32 v25, v22, v21
	v_sub_f16_e32 v27, v22, v21
	v_sub_f16_e32 v21, v21, v20
	;; [unrolled: 1-line block ×3, first 2 shown]
	v_add_f16_e32 v28, v19, v23
	v_add_f16_e32 v20, v20, v25
	v_sub_f16_e32 v25, v19, v23
	v_sub_f16_e32 v19, v24, v19
	;; [unrolled: 1-line block ×3, first 2 shown]
	v_add_f16_e32 v24, v28, v24
	v_add_f16_e32 v13, v13, v20
	v_mul_f16_e32 v28, 0x2b26, v22
	v_mul_f16_e32 v21, 0x3a52, v21
	;; [unrolled: 1-line block ×4, first 2 shown]
	v_fmamk_f16 v20, v20, 0xbcab, v13
	v_fma_f16 v28, v27, 0x39e0, -v28
	v_mul_lo_u16 v26, v26, 41
	v_fmamk_f16 v22, v22, 0x2b26, v21
	v_fma_f16 v21, v27, 0xb9e0, -v21
	v_fmamk_f16 v27, v19, 0x3574, v25
	v_fma_f16 v23, v23, 0x3b00, -v25
	v_fma_f16 v19, v19, 0xb574, -v29
	v_add_f16_e32 v25, v28, v20
	v_lshrrev_b16 v26, 11, v26
	v_mov_b32_e32 v28, 0x2bc
	v_mov_b32_e32 v29, 1
	v_add_f16_e32 v22, v22, v20
	v_add_f16_e32 v20, v21, v20
	v_fmac_f16_e32 v27, 0x370e, v24
	v_mul_u32_u24_sdwa v21, v26, v28 dst_sel:DWORD dst_unused:UNUSED_PAD src0_sel:WORD_0 src1_sel:DWORD
	v_lshlrev_b32_sdwa v18, v29, v18 dst_sel:DWORD dst_unused:UNUSED_PAD src0_sel:DWORD src1_sel:WORD_0
	v_fmac_f16_e32 v19, 0x370e, v24
	v_fmac_f16_e32 v23, 0x370e, v24
	v_sub_f16_e32 v24, v22, v27
	v_add3_u32 v18, 0, v21, v18
	v_sub_f16_e32 v26, v20, v19
	v_add_f16_e32 v21, v23, v25
	v_sub_f16_e32 v23, v25, v23
	v_add_f16_e32 v19, v19, v20
	v_add_f16_e32 v20, v27, v22
	ds_write_b16 v18, v13
	ds_write_b16 v18, v24 offset:100
	ds_write_b16 v18, v26 offset:200
	;; [unrolled: 1-line block ×6, first 2 shown]
.LBB0_21:
	s_or_b32 exec_lo, exec_lo, s1
	s_waitcnt lgkmcnt(0)
	s_barrier
	buffer_gl0_inv
	s_and_saveexec_b32 s0, vcc_lo
	s_cbranch_execz .LBB0_23
; %bb.22:
	v_lshlrev_b32_e32 v26, 2, v5
	v_mov_b32_e32 v27, 0
	v_mul_hi_u32 v13, 0x5d9f7391, v7
	v_add_nc_u32_e32 v28, 0xaf, v7
	v_mul_lo_u32 v5, s3, v3
	v_lshlrev_b64 v[18:19], 2, v[26:27]
	v_lshlrev_b32_e32 v26, 2, v7
	v_mul_hi_u32 v29, 0x5d9f7391, v28
	v_lshrrev_b32_e32 v13, 7, v13
	v_lshlrev_b64 v[22:23], 2, v[26:27]
	v_add_co_u32 v18, vcc_lo, s12, v18
	v_add_co_ci_u32_e32 v19, vcc_lo, s13, v19, vcc_lo
	v_mul_lo_u32 v26, s2, v4
	v_add_co_u32 v22, vcc_lo, s12, v22
	global_load_dwordx4 v[18:21], v[18:19], off offset:1392
	v_add_co_ci_u32_e32 v23, vcc_lo, s13, v23, vcc_lo
	v_mad_u64_u32 v[3:4], null, s2, v3, 0
	v_mul_u32_u24_e32 v13, 0x15e, v13
	global_load_dwordx4 v[22:25], v[22:23], off offset:1392
	ds_read_u16 v38, v0 offset:3150
	ds_read_u16 v39, v0 offset:2800
	;; [unrolled: 1-line block ×9, first 2 shown]
	ds_read_u16 v47, v0
	v_lshlrev_b64 v[0:1], 2, v[1:2]
	v_sub_nc_u32_e32 v7, v7, v13
	v_add3_u32 v4, v4, v26, v5
	v_lshrrev_b32_e32 v26, 7, v29
	v_mov_b32_e32 v2, v27
	v_mov_b32_e32 v5, v27
	v_lshlrev_b32_e32 v7, 2, v7
	v_lshlrev_b64 v[3:4], 2, v[3:4]
	v_mul_u32_u24_e32 v13, 0x15e, v26
	v_mov_b32_e32 v29, v27
	v_add_co_u32 v3, vcc_lo, s10, v3
	v_add_co_ci_u32_e32 v4, vcc_lo, s11, v4, vcc_lo
	v_sub_nc_u32_e32 v13, v28, v13
	v_add_co_u32 v48, vcc_lo, v3, v0
	v_add_co_ci_u32_e32 v49, vcc_lo, v4, v1, vcc_lo
	v_mad_u32_u24 v26, 0x6d6, v26, v13
	v_add_co_u32 v30, vcc_lo, v48, v7
	v_add_co_ci_u32_e32 v31, vcc_lo, 0, v49, vcc_lo
	v_add_nc_u32_e32 v1, 0x15e, v26
	v_lshlrev_b64 v[32:33], 2, v[26:27]
	v_add_co_u32 v34, vcc_lo, 0x800, v30
	v_add_nc_u32_e32 v4, 0x2bc, v26
	v_add_nc_u32_e32 v28, 0x41a, v26
	v_add_co_ci_u32_e32 v35, vcc_lo, 0, v31, vcc_lo
	v_add_co_u32 v36, vcc_lo, 0x1000, v30
	v_lshlrev_b64 v[0:1], 2, v[1:2]
	v_add_co_ci_u32_e32 v37, vcc_lo, 0, v31, vcc_lo
	v_lshlrev_b64 v[2:3], 2, v[4:5]
	v_lshlrev_b64 v[4:5], 2, v[28:29]
	v_add_co_u32 v28, vcc_lo, v48, v32
	v_add_nc_u32_e32 v26, 0x578, v26
	v_add_co_ci_u32_e32 v29, vcc_lo, v49, v33, vcc_lo
	v_add_co_u32 v0, vcc_lo, v48, v0
	v_add_co_ci_u32_e32 v1, vcc_lo, v49, v1, vcc_lo
	v_lshlrev_b64 v[26:27], 2, v[26:27]
	v_add_co_u32 v2, vcc_lo, v48, v2
	v_add_co_ci_u32_e32 v3, vcc_lo, v49, v3, vcc_lo
	v_add_co_u32 v4, vcc_lo, v48, v4
	v_add_co_ci_u32_e32 v5, vcc_lo, v49, v5, vcc_lo
	;; [unrolled: 2-line block ×3, first 2 shown]
	s_waitcnt vmcnt(1)
	v_mul_f16_sdwa v7, v15, v18 dst_sel:DWORD dst_unused:UNUSED_PAD src0_sel:DWORD src1_sel:WORD_1
	v_mul_f16_sdwa v13, v16, v19 dst_sel:DWORD dst_unused:UNUSED_PAD src0_sel:DWORD src1_sel:WORD_1
	v_mul_f16_sdwa v32, v17, v21 dst_sel:DWORD dst_unused:UNUSED_PAD src0_sel:DWORD src1_sel:WORD_1
	v_mul_f16_sdwa v33, v14, v20 dst_sel:DWORD dst_unused:UNUSED_PAD src0_sel:DWORD src1_sel:WORD_1
	s_waitcnt lgkmcnt(5)
	v_mul_f16_sdwa v48, v42, v19 dst_sel:DWORD dst_unused:UNUSED_PAD src0_sel:DWORD src1_sel:WORD_1
	v_mul_f16_sdwa v49, v40, v20 dst_sel:DWORD dst_unused:UNUSED_PAD src0_sel:DWORD src1_sel:WORD_1
	s_waitcnt lgkmcnt(3)
	v_mul_f16_sdwa v50, v44, v18 dst_sel:DWORD dst_unused:UNUSED_PAD src0_sel:DWORD src1_sel:WORD_1
	v_mul_f16_sdwa v51, v38, v21 dst_sel:DWORD dst_unused:UNUSED_PAD src0_sel:DWORD src1_sel:WORD_1
	v_fmac_f16_e32 v7, v44, v18
	v_fmac_f16_e32 v13, v42, v19
	;; [unrolled: 1-line block ×4, first 2 shown]
	v_fma_f16 v16, v16, v19, -v48
	v_fma_f16 v14, v14, v20, -v49
	;; [unrolled: 1-line block ×4, first 2 shown]
	s_waitcnt vmcnt(0)
	v_mul_f16_sdwa v18, v10, v22 dst_sel:DWORD dst_unused:UNUSED_PAD src0_sel:DWORD src1_sel:WORD_1
	v_mul_f16_sdwa v19, v12, v23 dst_sel:DWORD dst_unused:UNUSED_PAD src0_sel:DWORD src1_sel:WORD_1
	;; [unrolled: 1-line block ×6, first 2 shown]
	s_waitcnt lgkmcnt(2)
	v_mul_f16_sdwa v42, v45, v22 dst_sel:DWORD dst_unused:UNUSED_PAD src0_sel:DWORD src1_sel:WORD_1
	v_mul_f16_sdwa v44, v39, v25 dst_sel:DWORD dst_unused:UNUSED_PAD src0_sel:DWORD src1_sel:WORD_1
	v_sub_f16_e32 v48, v7, v13
	v_sub_f16_e32 v49, v32, v33
	v_sub_f16_e32 v51, v15, v17
	v_add_f16_e32 v52, v13, v33
	v_fmac_f16_e32 v18, v45, v22
	v_sub_f16_e32 v45, v15, v16
	v_fmac_f16_e32 v19, v43, v23
	v_sub_f16_e32 v43, v17, v14
	v_fmac_f16_e32 v20, v39, v25
	v_add_f16_e32 v39, v16, v14
	v_fmac_f16_e32 v21, v41, v24
	v_sub_f16_e32 v41, v7, v32
	v_fma_f16 v12, v12, v23, -v38
	v_fma_f16 v9, v9, v24, -v40
	v_sub_f16_e32 v24, v13, v7
	v_fma_f16 v10, v10, v22, -v42
	v_sub_f16_e32 v22, v33, v32
	v_fma_f16 v11, v11, v25, -v44
	v_add_f16_e32 v25, v7, v32
	v_sub_f16_e32 v38, v16, v15
	v_sub_f16_e32 v40, v14, v17
	v_add_f16_e32 v42, v15, v17
	s_waitcnt lgkmcnt(1)
	v_add_f16_e32 v7, v7, v46
	v_add_f16_e32 v15, v8, v15
	v_sub_f16_e32 v50, v16, v14
	v_sub_f16_e32 v23, v13, v33
	v_add_f16_e32 v44, v48, v49
	v_fma_f16 v48, -0.5, v52, v46
	v_add_f16_e32 v43, v45, v43
	v_fma_f16 v39, -0.5, v39, v8
	;; [unrolled: 2-line block ×4, first 2 shown]
	v_add_f16_e32 v7, v13, v7
	v_add_f16_e32 v13, v15, v16
	v_sub_f16_e32 v15, v18, v19
	v_sub_f16_e32 v16, v20, v21
	;; [unrolled: 1-line block ×3, first 2 shown]
	v_add_f16_e32 v42, v19, v21
	v_sub_f16_e32 v45, v10, v12
	v_sub_f16_e32 v46, v11, v9
	v_add_f16_e32 v49, v12, v9
	v_sub_f16_e32 v56, v12, v10
	v_add_f16_e32 v58, v10, v11
	v_add_f16_e32 v10, v6, v10
	v_add_f16_e32 v55, v18, v20
	v_sub_f16_e32 v52, v18, v20
	v_sub_f16_e32 v53, v19, v18
	s_waitcnt lgkmcnt(0)
	v_add_f16_e32 v18, v18, v47
	v_sub_f16_e32 v38, v12, v9
	v_add_f16_e32 v7, v33, v7
	v_add_f16_e32 v13, v13, v14
	;; [unrolled: 1-line block ×4, first 2 shown]
	v_fma_f16 v33, -0.5, v42, v47
	v_fma_f16 v46, -0.5, v49, v6
	v_add_f16_e32 v10, v10, v12
	v_fmamk_f16 v12, v41, 0xbb9c, v39
	v_fmac_f16_e32 v39, 0x3b9c, v41
	v_sub_f16_e32 v59, v19, v21
	v_fma_f16 v42, -0.5, v55, v47
	v_fma_f16 v6, -0.5, v58, v6
	v_fmamk_f16 v49, v23, 0x3b9c, v8
	v_fmac_f16_e32 v8, 0xbb9c, v23
	v_add_f16_e32 v18, v19, v18
	v_fmac_f16_e32 v12, 0xb8b4, v23
	v_fmac_f16_e32 v39, 0x38b4, v23
	v_add_f16_e32 v13, v17, v13
	v_fmamk_f16 v17, v40, 0x3b9c, v33
	v_fmamk_f16 v23, v52, 0xbb9c, v46
	v_fmac_f16_e32 v33, 0xbb9c, v40
	v_fmac_f16_e32 v46, 0x3b9c, v52
	v_sub_f16_e32 v54, v21, v20
	v_sub_f16_e32 v57, v9, v11
	v_fmac_f16_e32 v49, 0xb8b4, v41
	v_fmac_f16_e32 v8, 0x38b4, v41
	v_add_f16_e32 v7, v32, v7
	v_fmamk_f16 v32, v38, 0xbb9c, v42
	v_fmamk_f16 v41, v59, 0x3b9c, v6
	v_fmac_f16_e32 v42, 0x3b9c, v38
	v_fmac_f16_e32 v6, 0xbb9c, v59
	v_fmamk_f16 v47, v51, 0x3b9c, v48
	v_fmamk_f16 v19, v50, 0xbb9c, v24
	v_fmac_f16_e32 v24, 0x3b9c, v50
	v_fmac_f16_e32 v48, 0xbb9c, v51
	v_add_f16_e32 v18, v21, v18
	v_add_f16_e32 v9, v10, v9
	v_fmac_f16_e32 v33, 0xb8b4, v38
	v_fmac_f16_e32 v46, 0x38b4, v59
	v_add_f16_e32 v16, v53, v54
	v_add_f16_e32 v45, v56, v57
	v_fmac_f16_e32 v42, 0xb8b4, v40
	v_fmac_f16_e32 v6, 0x38b4, v52
	;; [unrolled: 1-line block ×10, first 2 shown]
	v_add_f16_e32 v10, v20, v18
	v_add_f16_e32 v9, v11, v9
	v_fmac_f16_e32 v33, 0x34f2, v14
	v_fmac_f16_e32 v46, 0x34f2, v15
	;; [unrolled: 1-line block ×16, first 2 shown]
	v_pack_b32_f16 v9, v9, v10
	v_pack_b32_f16 v7, v13, v7
	;; [unrolled: 1-line block ×10, first 2 shown]
	global_store_dword v[30:31], v9, off
	global_store_dword v[30:31], v13, off offset:1400
	global_store_dword v[34:35], v6, off offset:752
	;; [unrolled: 1-line block ×4, first 2 shown]
	global_store_dword v[28:29], v7, off
	global_store_dword v[0:1], v10, off
	;; [unrolled: 1-line block ×5, first 2 shown]
.LBB0_23:
	s_endpgm
	.section	.rodata,"a",@progbits
	.p2align	6, 0x0
	.amdhsa_kernel fft_rtc_fwd_len1750_factors_2_5_5_7_5_wgs_175_tpt_175_halfLds_half_op_CI_CI_unitstride_sbrr_dirReg
		.amdhsa_group_segment_fixed_size 0
		.amdhsa_private_segment_fixed_size 0
		.amdhsa_kernarg_size 104
		.amdhsa_user_sgpr_count 6
		.amdhsa_user_sgpr_private_segment_buffer 1
		.amdhsa_user_sgpr_dispatch_ptr 0
		.amdhsa_user_sgpr_queue_ptr 0
		.amdhsa_user_sgpr_kernarg_segment_ptr 1
		.amdhsa_user_sgpr_dispatch_id 0
		.amdhsa_user_sgpr_flat_scratch_init 0
		.amdhsa_user_sgpr_private_segment_size 0
		.amdhsa_wavefront_size32 1
		.amdhsa_uses_dynamic_stack 0
		.amdhsa_system_sgpr_private_segment_wavefront_offset 0
		.amdhsa_system_sgpr_workgroup_id_x 1
		.amdhsa_system_sgpr_workgroup_id_y 0
		.amdhsa_system_sgpr_workgroup_id_z 0
		.amdhsa_system_sgpr_workgroup_info 0
		.amdhsa_system_vgpr_workitem_id 0
		.amdhsa_next_free_vgpr 64
		.amdhsa_next_free_sgpr 27
		.amdhsa_reserve_vcc 1
		.amdhsa_reserve_flat_scratch 0
		.amdhsa_float_round_mode_32 0
		.amdhsa_float_round_mode_16_64 0
		.amdhsa_float_denorm_mode_32 3
		.amdhsa_float_denorm_mode_16_64 3
		.amdhsa_dx10_clamp 1
		.amdhsa_ieee_mode 1
		.amdhsa_fp16_overflow 0
		.amdhsa_workgroup_processor_mode 1
		.amdhsa_memory_ordered 1
		.amdhsa_forward_progress 0
		.amdhsa_shared_vgpr_count 0
		.amdhsa_exception_fp_ieee_invalid_op 0
		.amdhsa_exception_fp_denorm_src 0
		.amdhsa_exception_fp_ieee_div_zero 0
		.amdhsa_exception_fp_ieee_overflow 0
		.amdhsa_exception_fp_ieee_underflow 0
		.amdhsa_exception_fp_ieee_inexact 0
		.amdhsa_exception_int_div_zero 0
	.end_amdhsa_kernel
	.text
.Lfunc_end0:
	.size	fft_rtc_fwd_len1750_factors_2_5_5_7_5_wgs_175_tpt_175_halfLds_half_op_CI_CI_unitstride_sbrr_dirReg, .Lfunc_end0-fft_rtc_fwd_len1750_factors_2_5_5_7_5_wgs_175_tpt_175_halfLds_half_op_CI_CI_unitstride_sbrr_dirReg
                                        ; -- End function
	.section	.AMDGPU.csdata,"",@progbits
; Kernel info:
; codeLenInByte = 8496
; NumSgprs: 29
; NumVgprs: 64
; ScratchSize: 0
; MemoryBound: 0
; FloatMode: 240
; IeeeMode: 1
; LDSByteSize: 0 bytes/workgroup (compile time only)
; SGPRBlocks: 3
; VGPRBlocks: 7
; NumSGPRsForWavesPerEU: 29
; NumVGPRsForWavesPerEU: 64
; Occupancy: 15
; WaveLimiterHint : 1
; COMPUTE_PGM_RSRC2:SCRATCH_EN: 0
; COMPUTE_PGM_RSRC2:USER_SGPR: 6
; COMPUTE_PGM_RSRC2:TRAP_HANDLER: 0
; COMPUTE_PGM_RSRC2:TGID_X_EN: 1
; COMPUTE_PGM_RSRC2:TGID_Y_EN: 0
; COMPUTE_PGM_RSRC2:TGID_Z_EN: 0
; COMPUTE_PGM_RSRC2:TIDIG_COMP_CNT: 0
	.text
	.p2alignl 6, 3214868480
	.fill 48, 4, 3214868480
	.type	__hip_cuid_9982bec14fe4e362,@object ; @__hip_cuid_9982bec14fe4e362
	.section	.bss,"aw",@nobits
	.globl	__hip_cuid_9982bec14fe4e362
__hip_cuid_9982bec14fe4e362:
	.byte	0                               ; 0x0
	.size	__hip_cuid_9982bec14fe4e362, 1

	.ident	"AMD clang version 19.0.0git (https://github.com/RadeonOpenCompute/llvm-project roc-6.4.0 25133 c7fe45cf4b819c5991fe208aaa96edf142730f1d)"
	.section	".note.GNU-stack","",@progbits
	.addrsig
	.addrsig_sym __hip_cuid_9982bec14fe4e362
	.amdgpu_metadata
---
amdhsa.kernels:
  - .args:
      - .actual_access:  read_only
        .address_space:  global
        .offset:         0
        .size:           8
        .value_kind:     global_buffer
      - .offset:         8
        .size:           8
        .value_kind:     by_value
      - .actual_access:  read_only
        .address_space:  global
        .offset:         16
        .size:           8
        .value_kind:     global_buffer
      - .actual_access:  read_only
        .address_space:  global
        .offset:         24
        .size:           8
        .value_kind:     global_buffer
      - .actual_access:  read_only
        .address_space:  global
        .offset:         32
        .size:           8
        .value_kind:     global_buffer
      - .offset:         40
        .size:           8
        .value_kind:     by_value
      - .actual_access:  read_only
        .address_space:  global
        .offset:         48
        .size:           8
        .value_kind:     global_buffer
      - .actual_access:  read_only
        .address_space:  global
        .offset:         56
        .size:           8
        .value_kind:     global_buffer
      - .offset:         64
        .size:           4
        .value_kind:     by_value
      - .actual_access:  read_only
        .address_space:  global
        .offset:         72
        .size:           8
        .value_kind:     global_buffer
      - .actual_access:  read_only
        .address_space:  global
        .offset:         80
        .size:           8
        .value_kind:     global_buffer
      - .actual_access:  read_only
        .address_space:  global
        .offset:         88
        .size:           8
        .value_kind:     global_buffer
      - .actual_access:  write_only
        .address_space:  global
        .offset:         96
        .size:           8
        .value_kind:     global_buffer
    .group_segment_fixed_size: 0
    .kernarg_segment_align: 8
    .kernarg_segment_size: 104
    .language:       OpenCL C
    .language_version:
      - 2
      - 0
    .max_flat_workgroup_size: 175
    .name:           fft_rtc_fwd_len1750_factors_2_5_5_7_5_wgs_175_tpt_175_halfLds_half_op_CI_CI_unitstride_sbrr_dirReg
    .private_segment_fixed_size: 0
    .sgpr_count:     29
    .sgpr_spill_count: 0
    .symbol:         fft_rtc_fwd_len1750_factors_2_5_5_7_5_wgs_175_tpt_175_halfLds_half_op_CI_CI_unitstride_sbrr_dirReg.kd
    .uniform_work_group_size: 1
    .uses_dynamic_stack: false
    .vgpr_count:     64
    .vgpr_spill_count: 0
    .wavefront_size: 32
    .workgroup_processor_mode: 1
amdhsa.target:   amdgcn-amd-amdhsa--gfx1030
amdhsa.version:
  - 1
  - 2
...

	.end_amdgpu_metadata
